;; amdgpu-corpus repo=ROCm/rocFFT kind=compiled arch=gfx1030 opt=O3
	.text
	.amdgcn_target "amdgcn-amd-amdhsa--gfx1030"
	.amdhsa_code_object_version 6
	.protected	fft_rtc_fwd_len112_factors_4_7_4_wgs_448_tpt_28_dp_op_CI_CI_sbrc_aligned ; -- Begin function fft_rtc_fwd_len112_factors_4_7_4_wgs_448_tpt_28_dp_op_CI_CI_sbrc_aligned
	.globl	fft_rtc_fwd_len112_factors_4_7_4_wgs_448_tpt_28_dp_op_CI_CI_sbrc_aligned
	.p2align	8
	.type	fft_rtc_fwd_len112_factors_4_7_4_wgs_448_tpt_28_dp_op_CI_CI_sbrc_aligned,@function
fft_rtc_fwd_len112_factors_4_7_4_wgs_448_tpt_28_dp_op_CI_CI_sbrc_aligned: ; @fft_rtc_fwd_len112_factors_4_7_4_wgs_448_tpt_28_dp_op_CI_CI_sbrc_aligned
; %bb.0:
	s_clause 0x1
	s_load_dwordx8 s[8:15], s[4:5], 0x0
	s_load_dwordx2 s[24:25], s[4:5], 0x20
	s_mov_b32 s28, 0
	s_mov_b64 s[34:35], 2
	s_waitcnt lgkmcnt(0)
	s_load_dword s0, s[12:13], 0x8
	s_load_dwordx4 s[20:23], s[14:15], 0x0
	s_waitcnt lgkmcnt(0)
	s_add_i32 s0, s0, -1
	s_lshr_b32 s0, s0, 4
	s_add_i32 s7, s0, 1
	v_cvt_f32_u32_e32 v1, s7
	s_sub_i32 s1, 0, s7
	v_rcp_iflag_f32_e32 v1, v1
	v_mul_f32_e32 v1, 0x4f7ffffe, v1
	v_cvt_u32_f32_e32 v1, v1
	v_readfirstlane_b32 s0, v1
	s_mul_i32 s1, s1, s0
	s_mul_hi_u32 s1, s0, s1
	s_add_i32 s0, s0, s1
	s_mul_hi_u32 s26, s6, s0
	s_load_dwordx4 s[0:3], s[24:25], 0x0
	s_mul_i32 s16, s26, s7
	s_add_i32 s23, s26, 1
	s_waitcnt lgkmcnt(0)
	s_sub_i32 s3, s6, s16
	s_load_dwordx4 s[16:19], s[4:5], 0x58
	s_sub_i32 s27, s3, s7
	s_cmp_ge_u32 s3, s7
	s_cselect_b32 s4, s23, s26
	s_cselect_b32 s3, s27, s3
	s_add_i32 s5, s4, 1
	s_cmp_ge_u32 s3, s7
	s_mov_b32 s27, s28
	s_cselect_b32 s3, s5, s4
	v_cmp_gt_u64_e64 s4, s[10:11], 2
	s_mul_i32 s5, s3, s7
	s_sub_i32 s5, s6, s5
	s_lshl_b32 s5, s5, 4
	s_and_b32 vcc_lo, exec_lo, s4
	s_mul_i32 s23, s1, s5
	s_mul_hi_u32 s29, s0, s5
	s_mul_i32 s26, s5, s22
	s_mul_i32 s4, s0, s5
	s_add_i32 s5, s29, s23
	s_cbranch_vccz .LBB0_9
; %bb.1:
	s_mov_b32 s30, 3
.LBB0_2:                                ; =>This Inner Loop Header: Depth=1
	s_lshl_b64 s[36:37], s[34:35], 3
	s_add_u32 s34, s12, s36
	s_addc_u32 s35, s13, s37
	s_load_dwordx2 s[34:35], s[34:35], 0x0
	s_waitcnt lgkmcnt(0)
	s_mov_b32 s29, s35
	s_cmp_lg_u64 s[28:29], 0
	s_cbranch_scc0 .LBB0_7
; %bb.3:                                ;   in Loop: Header=BB0_2 Depth=1
	v_cvt_f32_u32_e32 v1, s34
	v_cvt_f32_u32_e32 v2, s35
	s_sub_u32 s31, 0, s34
	s_subb_u32 s33, 0, s35
	v_fmac_f32_e32 v1, 0x4f800000, v2
	v_rcp_f32_e32 v1, v1
	v_mul_f32_e32 v1, 0x5f7ffffc, v1
	v_mul_f32_e32 v2, 0x2f800000, v1
	v_trunc_f32_e32 v2, v2
	v_fmac_f32_e32 v1, 0xcf800000, v2
	v_cvt_u32_f32_e32 v2, v2
	v_cvt_u32_f32_e32 v1, v1
	v_readfirstlane_b32 s23, v2
	v_readfirstlane_b32 s29, v1
	s_mul_i32 s38, s31, s23
	s_mul_hi_u32 s40, s31, s29
	s_mul_i32 s39, s33, s29
	s_add_i32 s38, s40, s38
	s_mul_i32 s41, s31, s29
	s_add_i32 s38, s38, s39
	s_mul_hi_u32 s40, s29, s41
	s_mul_hi_u32 s42, s23, s41
	s_mul_i32 s39, s23, s41
	s_mul_hi_u32 s41, s29, s38
	s_mul_i32 s29, s29, s38
	s_mul_hi_u32 s43, s23, s38
	s_add_u32 s29, s40, s29
	s_addc_u32 s40, 0, s41
	s_add_u32 s29, s29, s39
	s_mul_i32 s38, s23, s38
	s_addc_u32 s29, s40, s42
	s_addc_u32 s39, s43, 0
	s_add_u32 s29, s29, s38
	s_addc_u32 s38, 0, s39
	v_add_co_u32 v1, s29, v1, s29
	s_cmp_lg_u32 s29, 0
	s_addc_u32 s23, s23, s38
	v_readfirstlane_b32 s29, v1
	s_mul_i32 s38, s31, s23
	s_mul_hi_u32 s39, s31, s29
	s_mul_i32 s33, s33, s29
	s_add_i32 s38, s39, s38
	s_mul_i32 s31, s31, s29
	s_add_i32 s38, s38, s33
	s_mul_hi_u32 s39, s23, s31
	s_mul_i32 s40, s23, s31
	s_mul_hi_u32 s31, s29, s31
	s_mul_hi_u32 s41, s29, s38
	s_mul_i32 s29, s29, s38
	s_mul_hi_u32 s33, s23, s38
	s_add_u32 s29, s31, s29
	s_addc_u32 s31, 0, s41
	s_add_u32 s29, s29, s40
	s_mul_i32 s38, s23, s38
	s_addc_u32 s29, s31, s39
	s_addc_u32 s31, s33, 0
	s_add_u32 s29, s29, s38
	s_addc_u32 s31, 0, s31
	v_add_co_u32 v1, s29, v1, s29
	s_cmp_lg_u32 s29, 0
	s_addc_u32 s23, s23, s31
	v_readfirstlane_b32 s29, v1
	s_mul_i32 s31, s3, s23
	s_mul_hi_u32 s23, s3, s23
	s_mul_hi_u32 s29, s3, s29
	s_add_u32 s29, s29, s31
	s_addc_u32 s29, 0, s23
	s_mul_i32 s23, s35, s29
	s_mul_hi_u32 s31, s34, s29
	s_mul_i32 s33, s34, s29
	s_add_i32 s31, s31, s23
	v_sub_co_u32 v1, s23, s3, s33
	s_sub_i32 s33, 0, s31
	s_cmp_lg_u32 s23, 0
	v_sub_co_u32 v2, s38, v1, s34
	s_subb_u32 s33, s33, s35
	s_cmp_lg_u32 s38, 0
	v_readfirstlane_b32 s38, v2
	s_subb_u32 s33, s33, 0
	s_cmp_ge_u32 s33, s35
	s_cselect_b32 s39, -1, 0
	s_cmp_ge_u32 s38, s34
	s_cselect_b32 s38, -1, 0
	s_cmp_eq_u32 s33, s35
	s_cselect_b32 s33, s38, s39
	s_add_u32 s38, s29, 1
	s_addc_u32 s39, 0, 0
	s_add_u32 s40, s29, 2
	s_addc_u32 s41, 0, 0
	s_cmp_lg_u32 s33, 0
	s_cselect_b32 s33, s40, s38
	s_cselect_b32 s38, s41, s39
	s_cmp_lg_u32 s23, 0
	v_readfirstlane_b32 s23, v1
	s_subb_u32 s31, 0, s31
	s_cmp_ge_u32 s31, s35
	s_cselect_b32 s39, -1, 0
	s_cmp_ge_u32 s23, s34
	s_cselect_b32 s23, -1, 0
	s_cmp_eq_u32 s31, s35
	s_cselect_b32 s23, s23, s39
	s_cmp_lg_u32 s23, 0
	s_cselect_b32 s39, s38, 0
	s_cselect_b32 s38, s33, s29
	s_cbranch_execnz .LBB0_5
.LBB0_4:                                ;   in Loop: Header=BB0_2 Depth=1
	v_cvt_f32_u32_e32 v1, s34
	s_sub_i32 s29, 0, s34
	s_mov_b32 s39, s28
	v_rcp_iflag_f32_e32 v1, v1
	v_mul_f32_e32 v1, 0x4f7ffffe, v1
	v_cvt_u32_f32_e32 v1, v1
	v_readfirstlane_b32 s23, v1
	s_mul_i32 s29, s29, s23
	s_mul_hi_u32 s29, s23, s29
	s_add_i32 s23, s23, s29
	s_mul_hi_u32 s23, s3, s23
	s_mul_i32 s29, s23, s34
	s_add_i32 s31, s23, 1
	s_sub_i32 s29, s3, s29
	s_sub_i32 s33, s29, s34
	s_cmp_ge_u32 s29, s34
	s_cselect_b32 s23, s31, s23
	s_cselect_b32 s29, s33, s29
	s_add_i32 s31, s23, 1
	s_cmp_ge_u32 s29, s34
	s_cselect_b32 s38, s31, s23
.LBB0_5:                                ;   in Loop: Header=BB0_2 Depth=1
	s_mul_i32 s23, s38, s35
	s_mul_hi_u32 s29, s38, s34
	s_mul_i32 s31, s38, s34
	s_add_i32 s23, s29, s23
	s_mul_i32 s29, s39, s34
	s_mul_i32 s7, s7, s34
	s_add_i32 s23, s23, s29
	s_sub_u32 s3, s3, s31
	s_subb_u32 s23, 0, s23
	s_add_u32 s40, s14, s36
	s_addc_u32 s41, s15, s37
	s_load_dwordx2 s[40:41], s[40:41], 0x0
	s_waitcnt lgkmcnt(0)
	s_mul_i32 s29, s40, s23
	s_mul_hi_u32 s31, s40, s3
	s_mul_i32 s33, s41, s3
	s_add_i32 s29, s31, s29
	s_mul_i32 s31, s40, s3
	s_add_i32 s29, s29, s33
	s_add_u32 s26, s31, s26
	s_addc_u32 s27, s29, s27
	s_add_u32 s36, s24, s36
	s_addc_u32 s37, s25, s37
	s_mov_b32 s31, s28
	s_load_dwordx2 s[36:37], s[36:37], 0x0
	s_mov_b64 s[34:35], s[30:31]
	v_cmp_ge_u64_e64 s29, s[30:31], s[10:11]
	s_waitcnt lgkmcnt(0)
	s_mul_i32 s23, s36, s23
	s_mul_hi_u32 s31, s36, s3
	s_mul_i32 s33, s37, s3
	s_add_i32 s23, s31, s23
	s_mul_i32 s3, s36, s3
	s_add_i32 s23, s23, s33
	s_add_u32 s4, s3, s4
	s_addc_u32 s5, s23, s5
	s_and_b32 vcc_lo, exec_lo, s29
	s_add_i32 s30, s30, 1
	s_cbranch_vccnz .LBB0_8
; %bb.6:                                ;   in Loop: Header=BB0_2 Depth=1
	s_mov_b32 s3, s38
	s_branch .LBB0_2
.LBB0_7:                                ;   in Loop: Header=BB0_2 Depth=1
                                        ; implicit-def: $sgpr38_sgpr39
	s_branch .LBB0_4
.LBB0_8:
	v_cvt_f32_u32_e32 v1, s7
	s_sub_i32 s12, 0, s7
	v_rcp_iflag_f32_e32 v1, v1
	v_mul_f32_e32 v1, 0x4f7ffffe, v1
	v_cvt_u32_f32_e32 v1, v1
	v_readfirstlane_b32 s3, v1
	s_mul_i32 s12, s12, s3
	s_mul_hi_u32 s12, s3, s12
	s_add_i32 s3, s3, s12
	s_mul_hi_u32 s3, s6, s3
	s_mul_i32 s12, s3, s7
	s_sub_i32 s6, s6, s12
	s_add_i32 s12, s3, 1
	s_sub_i32 s13, s6, s7
	s_cmp_ge_u32 s6, s7
	s_cselect_b32 s3, s12, s3
	s_cselect_b32 s6, s13, s6
	s_add_i32 s12, s3, 1
	s_cmp_ge_u32 s6, s7
	s_cselect_b32 s3, s12, s3
.LBB0_9:
	v_mul_u32_u24_e32 v1, 0x24a, v0
	s_lshl_b64 s[6:7], s[10:11], 3
	v_mov_b32_e32 v2, 0
	s_add_u32 s10, s14, s6
	s_addc_u32 s11, s15, s7
	v_lshrrev_b32_e32 v17, 16, v1
	s_load_dwordx2 s[10:11], s[10:11], 0x0
	v_mul_u32_u24_e32 v19, 0x925, v0
                                        ; implicit-def: $vgpr23_vgpr24
                                        ; implicit-def: $vgpr27_vgpr28
	v_mul_lo_u16 v1, 0x70, v17
	v_lshrrev_b32_e32 v19, 16, v19
	v_sub_nc_u16 v1, v0, v1
	v_mul_lo_u16 v20, v19, 28
	v_and_b32_e32 v19, 15, v19
	v_and_b32_e32 v18, 0xffff, v1
	v_mul_lo_u32 v1, s22, v17
	v_sub_nc_u16 v21, v0, v20
	v_mov_b32_e32 v20, 4
	v_mul_lo_u16 v32, 0x70, v19
	v_mad_u64_u32 v[3:4], null, s20, v18, 0
	s_waitcnt lgkmcnt(0)
	s_mul_i32 s11, s11, s3
	s_mul_hi_u32 s12, s10, s3
	s_mul_i32 s10, s10, s3
	s_add_i32 s11, s12, s11
	s_add_u32 s6, s24, s6
	s_addc_u32 s7, s25, s7
	s_lshl_b64 s[10:11], s[10:11], 4
	v_mad_u64_u32 v[4:5], null, s21, v18, v[4:5]
	s_add_u32 s12, s16, s10
	s_addc_u32 s13, s17, s11
	s_lshl_b64 s[10:11], s[26:27], 4
	v_lshlrev_b64 v[5:6], 4, v[1:2]
	s_add_u32 s10, s12, s10
	s_addc_u32 s11, s13, s11
	s_lshl_b32 s12, s22, 2
	v_lshlrev_b64 v[3:4], 4, v[3:4]
	v_add_nc_u32_e32 v1, s12, v1
	v_and_b32_e32 v31, 0xffff, v21
	v_mul_u32_u24_e32 v17, 0x700, v17
	v_lshlrev_b32_e32 v18, 4, v18
	v_lshlrev_b32_sdwa v19, v20, v32 dst_sel:DWORD dst_unused:UNUSED_PAD src0_sel:DWORD src1_sel:WORD_0
	v_lshlrev_b64 v[7:8], 4, v[1:2]
	v_add_nc_u32_e32 v1, s12, v1
	v_add_co_u32 v11, vcc_lo, s10, v3
	v_add_co_ci_u32_e32 v12, vcc_lo, s11, v4, vcc_lo
	v_lshlrev_b64 v[9:10], 4, v[1:2]
	v_add_nc_u32_e32 v1, s12, v1
	v_add_co_u32 v3, vcc_lo, v11, v5
	v_add_co_ci_u32_e32 v4, vcc_lo, v12, v6, vcc_lo
	v_lshlrev_b64 v[1:2], 4, v[1:2]
	v_add_co_u32 v5, vcc_lo, v11, v7
	v_add_co_ci_u32_e32 v6, vcc_lo, v12, v8, vcc_lo
	v_add_co_u32 v9, vcc_lo, v11, v9
	v_add_co_ci_u32_e32 v10, vcc_lo, v12, v10, vcc_lo
	;; [unrolled: 2-line block ×3, first 2 shown]
	s_clause 0x3
	global_load_dwordx4 v[1:4], v[3:4], off
	global_load_dwordx4 v[5:8], v[5:6], off
	;; [unrolled: 1-line block ×4, first 2 shown]
	v_lshlrev_b32_e32 v20, 4, v31
	v_add3_u32 v17, 0, v17, v18
	s_load_dwordx2 s[6:7], s[6:7], 0x0
	v_cmp_gt_u16_e32 vcc_lo, 16, v21
	s_waitcnt vmcnt(3)
	ds_write_b128 v17, v[1:4]
	s_waitcnt vmcnt(2)
	ds_write_b128 v17, v[5:8] offset:7168
	s_waitcnt vmcnt(1)
	ds_write_b128 v17, v[9:12] offset:14336
	s_waitcnt vmcnt(0)
	ds_write_b128 v17, v[13:16] offset:21504
	v_add3_u32 v29, 0, v20, v19
	v_add3_u32 v30, 0, v19, v20
	s_waitcnt lgkmcnt(0)
	s_barrier
	buffer_gl0_inv
	ds_read_b128 v[1:4], v29 offset:896
	ds_read_b128 v[5:8], v30
	ds_read_b128 v[9:12], v29 offset:448
	ds_read_b128 v[13:16], v29 offset:1344
	s_waitcnt lgkmcnt(0)
	s_barrier
	buffer_gl0_inv
	v_add_f64 v[1:2], v[5:6], -v[1:2]
	v_add_f64 v[3:4], v[7:8], -v[3:4]
	;; [unrolled: 1-line block ×4, first 2 shown]
	v_fma_f64 v[17:18], v[5:6], 2.0, -v[1:2]
	v_fma_f64 v[19:20], v[7:8], 2.0, -v[3:4]
	;; [unrolled: 1-line block ×4, first 2 shown]
	v_add_f64 v[9:10], v[1:2], -v[15:16]
	v_add_f64 v[11:12], v[3:4], v[13:14]
	v_add_f64 v[13:14], v[17:18], -v[5:6]
	v_add_f64 v[15:16], v[19:20], -v[7:8]
	v_fma_f64 v[5:6], v[1:2], 2.0, -v[9:10]
	v_fma_f64 v[7:8], v[3:4], 2.0, -v[11:12]
	;; [unrolled: 1-line block ×4, first 2 shown]
	v_mad_u32_u24 v17, v31, 48, v29
                                        ; implicit-def: $vgpr19_vgpr20
	ds_write_b128 v17, v[9:12] offset:48
	ds_write_b128 v17, v[5:8] offset:16
	;; [unrolled: 1-line block ×3, first 2 shown]
	ds_write_b128 v17, v[1:4]
	s_waitcnt lgkmcnt(0)
	s_barrier
	buffer_gl0_inv
	s_and_saveexec_b32 s10, vcc_lo
	s_cbranch_execz .LBB0_11
; %bb.10:
	ds_read_b128 v[1:4], v30
	ds_read_b128 v[5:8], v29 offset:256
	ds_read_b128 v[13:16], v29 offset:512
	ds_read_b128 v[9:12], v29 offset:768
	ds_read_b128 v[17:20], v29 offset:1024
	ds_read_b128 v[25:28], v29 offset:1280
	ds_read_b128 v[21:24], v29 offset:1536
.LBB0_11:
	s_or_b32 exec_lo, exec_lo, s10
	s_waitcnt lgkmcnt(0)
	s_barrier
	buffer_gl0_inv
	s_and_saveexec_b32 s10, vcc_lo
	s_cbranch_execz .LBB0_13
; %bb.12:
	v_and_b32_e32 v59, 3, v31
	s_mov_b32 s12, 0xe976ee23
	s_mov_b32 s13, 0xbfe11646
	;; [unrolled: 1-line block ×4, first 2 shown]
	v_mul_u32_u24_e32 v33, 6, v59
	s_mov_b32 s16, 0x429ad128
	s_mov_b32 s17, 0x3febfeb5
	;; [unrolled: 1-line block ×4, first 2 shown]
	v_lshlrev_b32_e32 v53, 4, v33
	s_mov_b32 s22, 0x5476071b
	s_mov_b32 s21, 0xbff2aaaa
	s_clause 0x5
	global_load_dwordx4 v[33:36], v53, s[8:9] offset:16
	global_load_dwordx4 v[37:40], v53, s[8:9] offset:64
	global_load_dwordx4 v[41:44], v53, s[8:9]
	global_load_dwordx4 v[45:48], v53, s[8:9] offset:80
	global_load_dwordx4 v[49:52], v53, s[8:9] offset:48
	global_load_dwordx4 v[53:56], v53, s[8:9] offset:32
	s_waitcnt vmcnt(5)
	v_mul_f64 v[57:58], v[15:16], v[35:36]
	v_mul_f64 v[35:36], v[13:14], v[35:36]
	v_fma_f64 v[13:14], v[13:14], v[33:34], -v[57:58]
	v_fma_f64 v[15:16], v[15:16], v[33:34], v[35:36]
	s_waitcnt vmcnt(4)
	v_mul_f64 v[33:34], v[27:28], v[39:40]
	v_mul_f64 v[35:36], v[25:26], v[39:40]
	s_waitcnt vmcnt(3)
	v_mul_f64 v[39:40], v[7:8], v[43:44]
	v_mul_f64 v[43:44], v[5:6], v[43:44]
	v_fma_f64 v[25:26], v[25:26], v[37:38], -v[33:34]
	v_fma_f64 v[27:28], v[27:28], v[37:38], v[35:36]
	s_waitcnt vmcnt(2)
	v_mul_f64 v[33:34], v[21:22], v[47:48]
	v_mul_f64 v[35:36], v[23:24], v[47:48]
	s_waitcnt vmcnt(1)
	v_mul_f64 v[37:38], v[19:20], v[51:52]
	s_waitcnt vmcnt(0)
	v_mul_f64 v[47:48], v[11:12], v[55:56]
	v_fma_f64 v[5:6], v[5:6], v[41:42], -v[39:40]
	v_fma_f64 v[7:8], v[7:8], v[41:42], v[43:44]
	v_mul_f64 v[39:40], v[9:10], v[55:56]
	v_mul_f64 v[41:42], v[17:18], v[51:52]
	v_fma_f64 v[23:24], v[23:24], v[45:46], v[33:34]
	v_fma_f64 v[21:22], v[21:22], v[45:46], -v[35:36]
	v_fma_f64 v[17:18], v[17:18], v[49:50], -v[37:38]
	;; [unrolled: 1-line block ×3, first 2 shown]
	v_add_f64 v[33:34], v[15:16], v[27:28]
	v_add_f64 v[37:38], v[13:14], v[25:26]
	v_fma_f64 v[11:12], v[11:12], v[53:54], v[39:40]
	v_fma_f64 v[19:20], v[19:20], v[49:50], v[41:42]
	v_add_f64 v[13:14], v[13:14], -v[25:26]
	v_add_f64 v[15:16], v[15:16], -v[27:28]
	v_add_f64 v[35:36], v[7:8], v[23:24]
	v_add_f64 v[39:40], v[5:6], v[21:22]
	v_add_f64 v[5:6], v[5:6], -v[21:22]
	v_add_f64 v[41:42], v[17:18], -v[9:10]
	v_add_f64 v[9:10], v[9:10], v[17:18]
	v_add_f64 v[7:8], v[7:8], -v[23:24]
	v_add_f64 v[25:26], v[11:12], v[19:20]
	;; [unrolled: 2-line block ×3, first 2 shown]
	v_add_f64 v[19:20], v[37:38], v[39:40]
	v_add_f64 v[45:46], v[13:14], -v[5:6]
	v_add_f64 v[21:22], v[41:42], -v[13:14]
	;; [unrolled: 1-line block ×4, first 2 shown]
	v_add_f64 v[13:14], v[41:42], v[13:14]
	v_add_f64 v[23:24], v[35:36], -v[25:26]
	v_add_f64 v[27:28], v[11:12], -v[15:16]
	;; [unrolled: 1-line block ×4, first 2 shown]
	v_add_f64 v[11:12], v[11:12], v[15:16]
	v_add_f64 v[17:18], v[25:26], v[17:18]
	v_add_f64 v[19:20], v[9:10], v[19:20]
	v_add_f64 v[25:26], v[25:26], -v[33:34]
	v_add_f64 v[9:10], v[9:10], -v[37:38]
	v_mul_f64 v[21:22], v[21:22], s[12:13]
	v_add_f64 v[33:34], v[33:34], -v[35:36]
	v_add_f64 v[35:36], v[37:38], -v[39:40]
	v_mul_f64 v[23:24], v[23:24], s[14:15]
	v_mul_f64 v[27:28], v[27:28], s[12:13]
	s_mov_b32 s12, 0x36b3c0b5
	v_mul_f64 v[37:38], v[43:44], s[14:15]
	s_mov_b32 s13, 0x3fac98ee
	v_mul_f64 v[39:40], v[45:46], s[16:17]
	v_mul_f64 v[43:44], v[47:48], s[16:17]
	s_mov_b32 s15, 0x3fd5d0dc
	s_mov_b32 s14, 0xb247c609
	v_add_f64 v[5:6], v[13:14], v[5:6]
	v_add_f64 v[7:8], v[11:12], v[7:8]
	;; [unrolled: 1-line block ×4, first 2 shown]
	v_mul_f64 v[15:16], v[25:26], s[12:13]
	v_mul_f64 v[51:52], v[9:10], s[12:13]
	v_fma_f64 v[13:14], v[41:42], s[14:15], v[21:22]
	v_fma_f64 v[21:22], v[45:46], s[16:17], -v[21:22]
	v_fma_f64 v[25:26], v[25:26], s[12:13], v[23:24]
	v_fma_f64 v[53:54], v[49:50], s[14:15], v[27:28]
	s_mov_b32 s15, 0xbfd5d0dc
	v_fma_f64 v[23:24], v[33:34], s[22:23], -v[23:24]
	v_fma_f64 v[55:56], v[35:36], s[22:23], -v[37:38]
	s_mov_b32 s23, 0x3fe77f67
	v_fma_f64 v[9:10], v[9:10], s[12:13], v[37:38]
	v_fma_f64 v[39:40], v[41:42], s[14:15], -v[39:40]
	s_mov_b32 s12, 0x37c3f68c
	s_mov_b32 s13, 0x3fdc38aa
	v_fma_f64 v[17:18], v[17:18], s[20:21], v[3:4]
	v_fma_f64 v[19:20], v[19:20], s[20:21], v[1:2]
	v_fma_f64 v[11:12], v[33:34], s[22:23], -v[15:16]
	v_fma_f64 v[15:16], v[47:48], s[16:17], -v[27:28]
	;; [unrolled: 1-line block ×4, first 2 shown]
	v_fma_f64 v[13:14], v[5:6], s[12:13], v[13:14]
	v_fma_f64 v[21:22], v[5:6], s[12:13], v[21:22]
	;; [unrolled: 1-line block ×3, first 2 shown]
	v_mov_b32_e32 v43, 4
	v_fma_f64 v[5:6], v[5:6], s[12:13], v[39:40]
	v_lshlrev_b32_sdwa v32, v43, v32 dst_sel:DWORD dst_unused:UNUSED_PAD src0_sel:DWORD src1_sel:WORD_0
	v_add_f64 v[25:26], v[25:26], v[17:18]
	v_add_f64 v[41:42], v[9:10], v[19:20]
	;; [unrolled: 1-line block ×4, first 2 shown]
	v_fma_f64 v[39:40], v[7:8], s[12:13], v[27:28]
	v_add_f64 v[9:10], v[55:56], v[19:20]
	v_fma_f64 v[37:38], v[7:8], s[12:13], v[15:16]
	v_add_f64 v[33:34], v[33:34], v[19:20]
	v_lshrrev_b32_e32 v7, 2, v31
	v_mul_u32_u24_e32 v44, 28, v7
	v_add_f64 v[7:8], v[13:14], v[25:26]
	v_add_f64 v[27:28], v[25:26], -v[13:14]
	v_add_f64 v[25:26], v[35:36], v[41:42]
	v_add_f64 v[11:12], v[5:6], v[23:24]
	v_add_f64 v[15:16], v[17:18], -v[21:22]
	v_add_f64 v[19:20], v[21:22], v[17:18]
	v_add_f64 v[23:24], v[23:24], -v[5:6]
	;; [unrolled: 2-line block ×4, first 2 shown]
	v_add_f64 v[5:6], v[41:42], -v[35:36]
	v_or_b32_e32 v33, v44, v59
	v_lshlrev_b32_e32 v33, 4, v33
	v_add3_u32 v32, 0, v33, v32
	ds_write_b128 v32, v[1:4]
	ds_write_b128 v32, v[25:28] offset:64
	ds_write_b128 v32, v[21:24] offset:128
	;; [unrolled: 1-line block ×6, first 2 shown]
.LBB0_13:
	s_or_b32 exec_lo, exec_lo, s10
	v_mul_u32_u24_e32 v1, 3, v31
	s_waitcnt lgkmcnt(0)
	s_barrier
	buffer_gl0_inv
	s_mul_i32 s7, s7, s3
	v_lshlrev_b32_e32 v9, 4, v1
	s_clause 0x2
	global_load_dwordx4 v[1:4], v9, s[8:9] offset:384
	global_load_dwordx4 v[5:8], v9, s[8:9] offset:400
	;; [unrolled: 1-line block ×3, first 2 shown]
	ds_read_b128 v[13:16], v29 offset:448
	ds_read_b128 v[17:20], v29 offset:896
	;; [unrolled: 1-line block ×3, first 2 shown]
	ds_read_b128 v[25:28], v30
	v_and_b32_e32 v30, 0x1f0, v0
	s_mul_hi_u32 s8, s6, s3
	s_mul_i32 s6, s6, s3
	s_add_i32 s7, s8, s7
	s_mul_i32 s8, s2, 28
	s_waitcnt vmcnt(0) lgkmcnt(0)
	s_barrier
	buffer_gl0_inv
	v_mul_f64 v[31:32], v[15:16], v[3:4]
	v_mul_f64 v[3:4], v[13:14], v[3:4]
	;; [unrolled: 1-line block ×6, first 2 shown]
	v_fma_f64 v[13:14], v[13:14], v[1:2], -v[31:32]
	v_fma_f64 v[1:2], v[15:16], v[1:2], v[3:4]
	v_fma_f64 v[3:4], v[17:18], v[5:6], -v[33:34]
	v_fma_f64 v[5:6], v[19:20], v[5:6], v[7:8]
	;; [unrolled: 2-line block ×3, first 2 shown]
	v_mov_b32_e32 v22, 0
	v_add_f64 v[11:12], v[25:26], -v[3:4]
	v_add_f64 v[15:16], v[27:28], -v[5:6]
	;; [unrolled: 1-line block ×4, first 2 shown]
	v_fma_f64 v[17:18], v[25:26], 2.0, -v[11:12]
	v_fma_f64 v[19:20], v[27:28], 2.0, -v[15:16]
	v_fma_f64 v[7:8], v[13:14], 2.0, -v[3:4]
	v_fma_f64 v[9:10], v[1:2], 2.0, -v[5:6]
	v_add_f64 v[1:2], v[11:12], -v[5:6]
	v_add_f64 v[3:4], v[15:16], v[3:4]
	v_and_b32_e32 v13, 15, v0
	v_mad_u64_u32 v[23:24], null, s0, v13, 0
	v_mul_u32_u24_e32 v31, 0x700, v13
	v_add_f64 v[5:6], v[17:18], -v[7:8]
	v_add_f64 v[7:8], v[19:20], -v[9:10]
	v_lshrrev_b32_e32 v9, 4, v0
	v_mov_b32_e32 v0, v24
	v_mul_lo_u32 v21, v9, s2
	v_fma_f64 v[9:10], v[11:12], 2.0, -v[1:2]
	v_fma_f64 v[11:12], v[15:16], 2.0, -v[3:4]
	v_mad_u64_u32 v[27:28], null, s1, v13, v[0:1]
	s_lshl_b64 s[2:3], s[6:7], 4
	s_add_u32 s2, s18, s2
	v_lshlrev_b64 v[25:26], 4, v[21:22]
	v_add_nc_u32_e32 v21, s8, v21
	s_addc_u32 s3, s19, s3
	v_mov_b32_e32 v24, v27
	v_add3_u32 v27, 0, v31, v30
	s_lshl_b64 s[0:1], s[4:5], 4
	v_fma_f64 v[13:14], v[17:18], 2.0, -v[5:6]
	v_fma_f64 v[15:16], v[19:20], 2.0, -v[7:8]
	v_lshlrev_b64 v[23:24], 4, v[23:24]
	v_lshlrev_b64 v[17:18], 4, v[21:22]
	v_add_nc_u32_e32 v21, s8, v21
	s_add_u32 s0, s2, s0
	s_addc_u32 s1, s3, s1
	ds_write_b128 v29, v[1:4] offset:1344
	ds_write_b128 v29, v[9:12] offset:448
	;; [unrolled: 1-line block ×3, first 2 shown]
	ds_write_b128 v29, v[13:16]
	s_waitcnt lgkmcnt(0)
	s_barrier
	buffer_gl0_inv
	ds_read_b128 v[0:3], v27
	ds_read_b128 v[4:7], v27 offset:448
	ds_read_b128 v[8:11], v27 offset:896
	;; [unrolled: 1-line block ×3, first 2 shown]
	v_add_co_u32 v28, vcc_lo, s0, v23
	v_add_co_ci_u32_e32 v30, vcc_lo, s1, v24, vcc_lo
	v_lshlrev_b64 v[19:20], 4, v[21:22]
	v_add_nc_u32_e32 v21, s8, v21
	v_add_co_u32 v23, vcc_lo, v28, v25
	v_add_co_ci_u32_e32 v24, vcc_lo, v30, v26, vcc_lo
	v_lshlrev_b64 v[21:22], 4, v[21:22]
	v_add_co_u32 v16, vcc_lo, v28, v17
	v_add_co_ci_u32_e32 v17, vcc_lo, v30, v18, vcc_lo
	v_add_co_u32 v18, vcc_lo, v28, v19
	v_add_co_ci_u32_e32 v19, vcc_lo, v30, v20, vcc_lo
	;; [unrolled: 2-line block ×3, first 2 shown]
	s_waitcnt lgkmcnt(3)
	global_store_dwordx4 v[23:24], v[0:3], off
	s_waitcnt lgkmcnt(2)
	global_store_dwordx4 v[16:17], v[4:7], off
	;; [unrolled: 2-line block ×4, first 2 shown]
	s_endpgm
	.section	.rodata,"a",@progbits
	.p2align	6, 0x0
	.amdhsa_kernel fft_rtc_fwd_len112_factors_4_7_4_wgs_448_tpt_28_dp_op_CI_CI_sbrc_aligned
		.amdhsa_group_segment_fixed_size 0
		.amdhsa_private_segment_fixed_size 0
		.amdhsa_kernarg_size 104
		.amdhsa_user_sgpr_count 6
		.amdhsa_user_sgpr_private_segment_buffer 1
		.amdhsa_user_sgpr_dispatch_ptr 0
		.amdhsa_user_sgpr_queue_ptr 0
		.amdhsa_user_sgpr_kernarg_segment_ptr 1
		.amdhsa_user_sgpr_dispatch_id 0
		.amdhsa_user_sgpr_flat_scratch_init 0
		.amdhsa_user_sgpr_private_segment_size 0
		.amdhsa_wavefront_size32 1
		.amdhsa_uses_dynamic_stack 0
		.amdhsa_system_sgpr_private_segment_wavefront_offset 0
		.amdhsa_system_sgpr_workgroup_id_x 1
		.amdhsa_system_sgpr_workgroup_id_y 0
		.amdhsa_system_sgpr_workgroup_id_z 0
		.amdhsa_system_sgpr_workgroup_info 0
		.amdhsa_system_vgpr_workitem_id 0
		.amdhsa_next_free_vgpr 60
		.amdhsa_next_free_sgpr 44
		.amdhsa_reserve_vcc 1
		.amdhsa_reserve_flat_scratch 0
		.amdhsa_float_round_mode_32 0
		.amdhsa_float_round_mode_16_64 0
		.amdhsa_float_denorm_mode_32 3
		.amdhsa_float_denorm_mode_16_64 3
		.amdhsa_dx10_clamp 1
		.amdhsa_ieee_mode 1
		.amdhsa_fp16_overflow 0
		.amdhsa_workgroup_processor_mode 1
		.amdhsa_memory_ordered 1
		.amdhsa_forward_progress 0
		.amdhsa_shared_vgpr_count 0
		.amdhsa_exception_fp_ieee_invalid_op 0
		.amdhsa_exception_fp_denorm_src 0
		.amdhsa_exception_fp_ieee_div_zero 0
		.amdhsa_exception_fp_ieee_overflow 0
		.amdhsa_exception_fp_ieee_underflow 0
		.amdhsa_exception_fp_ieee_inexact 0
		.amdhsa_exception_int_div_zero 0
	.end_amdhsa_kernel
	.text
.Lfunc_end0:
	.size	fft_rtc_fwd_len112_factors_4_7_4_wgs_448_tpt_28_dp_op_CI_CI_sbrc_aligned, .Lfunc_end0-fft_rtc_fwd_len112_factors_4_7_4_wgs_448_tpt_28_dp_op_CI_CI_sbrc_aligned
                                        ; -- End function
	.section	.AMDGPU.csdata,"",@progbits
; Kernel info:
; codeLenInByte = 3700
; NumSgprs: 46
; NumVgprs: 60
; ScratchSize: 0
; MemoryBound: 0
; FloatMode: 240
; IeeeMode: 1
; LDSByteSize: 0 bytes/workgroup (compile time only)
; SGPRBlocks: 5
; VGPRBlocks: 7
; NumSGPRsForWavesPerEU: 46
; NumVGPRsForWavesPerEU: 60
; Occupancy: 14
; WaveLimiterHint : 1
; COMPUTE_PGM_RSRC2:SCRATCH_EN: 0
; COMPUTE_PGM_RSRC2:USER_SGPR: 6
; COMPUTE_PGM_RSRC2:TRAP_HANDLER: 0
; COMPUTE_PGM_RSRC2:TGID_X_EN: 1
; COMPUTE_PGM_RSRC2:TGID_Y_EN: 0
; COMPUTE_PGM_RSRC2:TGID_Z_EN: 0
; COMPUTE_PGM_RSRC2:TIDIG_COMP_CNT: 0
	.text
	.p2alignl 6, 3214868480
	.fill 48, 4, 3214868480
	.type	__hip_cuid_b31f4bf5d093de13,@object ; @__hip_cuid_b31f4bf5d093de13
	.section	.bss,"aw",@nobits
	.globl	__hip_cuid_b31f4bf5d093de13
__hip_cuid_b31f4bf5d093de13:
	.byte	0                               ; 0x0
	.size	__hip_cuid_b31f4bf5d093de13, 1

	.ident	"AMD clang version 19.0.0git (https://github.com/RadeonOpenCompute/llvm-project roc-6.4.0 25133 c7fe45cf4b819c5991fe208aaa96edf142730f1d)"
	.section	".note.GNU-stack","",@progbits
	.addrsig
	.addrsig_sym __hip_cuid_b31f4bf5d093de13
	.amdgpu_metadata
---
amdhsa.kernels:
  - .args:
      - .actual_access:  read_only
        .address_space:  global
        .offset:         0
        .size:           8
        .value_kind:     global_buffer
      - .offset:         8
        .size:           8
        .value_kind:     by_value
      - .actual_access:  read_only
        .address_space:  global
        .offset:         16
        .size:           8
        .value_kind:     global_buffer
      - .actual_access:  read_only
        .address_space:  global
        .offset:         24
        .size:           8
        .value_kind:     global_buffer
      - .actual_access:  read_only
        .address_space:  global
        .offset:         32
        .size:           8
        .value_kind:     global_buffer
      - .offset:         40
        .size:           8
        .value_kind:     by_value
      - .actual_access:  read_only
        .address_space:  global
        .offset:         48
        .size:           8
        .value_kind:     global_buffer
      - .actual_access:  read_only
        .address_space:  global
        .offset:         56
        .size:           8
        .value_kind:     global_buffer
      - .offset:         64
        .size:           4
        .value_kind:     by_value
      - .actual_access:  read_only
        .address_space:  global
        .offset:         72
        .size:           8
        .value_kind:     global_buffer
      - .actual_access:  read_only
        .address_space:  global
        .offset:         80
        .size:           8
        .value_kind:     global_buffer
      - .actual_access:  read_only
        .address_space:  global
        .offset:         88
        .size:           8
        .value_kind:     global_buffer
      - .actual_access:  write_only
        .address_space:  global
        .offset:         96
        .size:           8
        .value_kind:     global_buffer
    .group_segment_fixed_size: 0
    .kernarg_segment_align: 8
    .kernarg_segment_size: 104
    .language:       OpenCL C
    .language_version:
      - 2
      - 0
    .max_flat_workgroup_size: 448
    .name:           fft_rtc_fwd_len112_factors_4_7_4_wgs_448_tpt_28_dp_op_CI_CI_sbrc_aligned
    .private_segment_fixed_size: 0
    .sgpr_count:     46
    .sgpr_spill_count: 0
    .symbol:         fft_rtc_fwd_len112_factors_4_7_4_wgs_448_tpt_28_dp_op_CI_CI_sbrc_aligned.kd
    .uniform_work_group_size: 1
    .uses_dynamic_stack: false
    .vgpr_count:     60
    .vgpr_spill_count: 0
    .wavefront_size: 32
    .workgroup_processor_mode: 1
amdhsa.target:   amdgcn-amd-amdhsa--gfx1030
amdhsa.version:
  - 1
  - 2
...

	.end_amdgpu_metadata
